;; amdgpu-corpus repo=ROCm/rocFFT kind=compiled arch=gfx906 opt=O3
	.text
	.amdgcn_target "amdgcn-amd-amdhsa--gfx906"
	.amdhsa_code_object_version 6
	.protected	fft_rtc_fwd_len1715_factors_5_7_7_7_wgs_245_tpt_245_halfLds_half_ip_CI_sbrr_dirReg ; -- Begin function fft_rtc_fwd_len1715_factors_5_7_7_7_wgs_245_tpt_245_halfLds_half_ip_CI_sbrr_dirReg
	.globl	fft_rtc_fwd_len1715_factors_5_7_7_7_wgs_245_tpt_245_halfLds_half_ip_CI_sbrr_dirReg
	.p2align	8
	.type	fft_rtc_fwd_len1715_factors_5_7_7_7_wgs_245_tpt_245_halfLds_half_ip_CI_sbrr_dirReg,@function
fft_rtc_fwd_len1715_factors_5_7_7_7_wgs_245_tpt_245_halfLds_half_ip_CI_sbrr_dirReg: ; @fft_rtc_fwd_len1715_factors_5_7_7_7_wgs_245_tpt_245_halfLds_half_ip_CI_sbrr_dirReg
; %bb.0:
	s_load_dwordx2 s[14:15], s[4:5], 0x18
	s_load_dwordx4 s[8:11], s[4:5], 0x0
	s_load_dwordx2 s[12:13], s[4:5], 0x50
	v_mul_u32_u24_e32 v1, 0x10c, v0
	v_add_u32_sdwa v5, s6, v1 dst_sel:DWORD dst_unused:UNUSED_PAD src0_sel:DWORD src1_sel:WORD_1
	s_waitcnt lgkmcnt(0)
	s_load_dwordx2 s[2:3], s[14:15], 0x0
	v_cmp_lt_u64_e64 s[0:1], s[10:11], 2
	v_mov_b32_e32 v3, 0
	v_mov_b32_e32 v1, 0
	;; [unrolled: 1-line block ×3, first 2 shown]
	s_and_b64 vcc, exec, s[0:1]
	v_mov_b32_e32 v2, 0
	s_cbranch_vccnz .LBB0_8
; %bb.1:
	s_load_dwordx2 s[0:1], s[4:5], 0x10
	s_add_u32 s6, s14, 8
	s_addc_u32 s7, s15, 0
	v_mov_b32_e32 v1, 0
	v_mov_b32_e32 v2, 0
	s_waitcnt lgkmcnt(0)
	s_add_u32 s16, s0, 8
	s_addc_u32 s17, s1, 0
	s_mov_b64 s[18:19], 1
.LBB0_2:                                ; =>This Inner Loop Header: Depth=1
	s_load_dwordx2 s[20:21], s[16:17], 0x0
                                        ; implicit-def: $vgpr7_vgpr8
	s_waitcnt lgkmcnt(0)
	v_or_b32_e32 v4, s21, v6
	v_cmp_ne_u64_e32 vcc, 0, v[3:4]
	s_and_saveexec_b64 s[0:1], vcc
	s_xor_b64 s[22:23], exec, s[0:1]
	s_cbranch_execz .LBB0_4
; %bb.3:                                ;   in Loop: Header=BB0_2 Depth=1
	v_cvt_f32_u32_e32 v4, s20
	v_cvt_f32_u32_e32 v7, s21
	s_sub_u32 s0, 0, s20
	s_subb_u32 s1, 0, s21
	v_mac_f32_e32 v4, 0x4f800000, v7
	v_rcp_f32_e32 v4, v4
	v_mul_f32_e32 v4, 0x5f7ffffc, v4
	v_mul_f32_e32 v7, 0x2f800000, v4
	v_trunc_f32_e32 v7, v7
	v_mac_f32_e32 v4, 0xcf800000, v7
	v_cvt_u32_f32_e32 v7, v7
	v_cvt_u32_f32_e32 v4, v4
	v_mul_lo_u32 v8, s0, v7
	v_mul_hi_u32 v9, s0, v4
	v_mul_lo_u32 v11, s1, v4
	v_mul_lo_u32 v10, s0, v4
	v_add_u32_e32 v8, v9, v8
	v_add_u32_e32 v8, v8, v11
	v_mul_hi_u32 v9, v4, v10
	v_mul_lo_u32 v11, v4, v8
	v_mul_hi_u32 v13, v4, v8
	v_mul_hi_u32 v12, v7, v10
	v_mul_lo_u32 v10, v7, v10
	v_mul_hi_u32 v14, v7, v8
	v_add_co_u32_e32 v9, vcc, v9, v11
	v_addc_co_u32_e32 v11, vcc, 0, v13, vcc
	v_mul_lo_u32 v8, v7, v8
	v_add_co_u32_e32 v9, vcc, v9, v10
	v_addc_co_u32_e32 v9, vcc, v11, v12, vcc
	v_addc_co_u32_e32 v10, vcc, 0, v14, vcc
	v_add_co_u32_e32 v8, vcc, v9, v8
	v_addc_co_u32_e32 v9, vcc, 0, v10, vcc
	v_add_co_u32_e32 v4, vcc, v4, v8
	v_addc_co_u32_e32 v7, vcc, v7, v9, vcc
	v_mul_lo_u32 v8, s0, v7
	v_mul_hi_u32 v9, s0, v4
	v_mul_lo_u32 v10, s1, v4
	v_mul_lo_u32 v11, s0, v4
	v_add_u32_e32 v8, v9, v8
	v_add_u32_e32 v8, v8, v10
	v_mul_lo_u32 v12, v4, v8
	v_mul_hi_u32 v13, v4, v11
	v_mul_hi_u32 v14, v4, v8
	;; [unrolled: 1-line block ×3, first 2 shown]
	v_mul_lo_u32 v11, v7, v11
	v_mul_hi_u32 v9, v7, v8
	v_add_co_u32_e32 v12, vcc, v13, v12
	v_addc_co_u32_e32 v13, vcc, 0, v14, vcc
	v_mul_lo_u32 v8, v7, v8
	v_add_co_u32_e32 v11, vcc, v12, v11
	v_addc_co_u32_e32 v10, vcc, v13, v10, vcc
	v_addc_co_u32_e32 v9, vcc, 0, v9, vcc
	v_add_co_u32_e32 v8, vcc, v10, v8
	v_addc_co_u32_e32 v9, vcc, 0, v9, vcc
	v_add_co_u32_e32 v4, vcc, v4, v8
	v_addc_co_u32_e32 v9, vcc, v7, v9, vcc
	v_mad_u64_u32 v[7:8], s[0:1], v5, v9, 0
	v_mul_hi_u32 v10, v5, v4
	v_add_co_u32_e32 v11, vcc, v10, v7
	v_addc_co_u32_e32 v12, vcc, 0, v8, vcc
	v_mad_u64_u32 v[7:8], s[0:1], v6, v4, 0
	v_mad_u64_u32 v[9:10], s[0:1], v6, v9, 0
	v_add_co_u32_e32 v4, vcc, v11, v7
	v_addc_co_u32_e32 v4, vcc, v12, v8, vcc
	v_addc_co_u32_e32 v7, vcc, 0, v10, vcc
	v_add_co_u32_e32 v4, vcc, v4, v9
	v_addc_co_u32_e32 v9, vcc, 0, v7, vcc
	v_mul_lo_u32 v10, s21, v4
	v_mul_lo_u32 v11, s20, v9
	v_mad_u64_u32 v[7:8], s[0:1], s20, v4, 0
	v_add3_u32 v8, v8, v11, v10
	v_sub_u32_e32 v10, v6, v8
	v_mov_b32_e32 v11, s21
	v_sub_co_u32_e32 v7, vcc, v5, v7
	v_subb_co_u32_e64 v10, s[0:1], v10, v11, vcc
	v_subrev_co_u32_e64 v11, s[0:1], s20, v7
	v_subbrev_co_u32_e64 v10, s[0:1], 0, v10, s[0:1]
	v_cmp_le_u32_e64 s[0:1], s21, v10
	v_cndmask_b32_e64 v12, 0, -1, s[0:1]
	v_cmp_le_u32_e64 s[0:1], s20, v11
	v_cndmask_b32_e64 v11, 0, -1, s[0:1]
	v_cmp_eq_u32_e64 s[0:1], s21, v10
	v_cndmask_b32_e64 v10, v12, v11, s[0:1]
	v_add_co_u32_e64 v11, s[0:1], 2, v4
	v_addc_co_u32_e64 v12, s[0:1], 0, v9, s[0:1]
	v_add_co_u32_e64 v13, s[0:1], 1, v4
	v_addc_co_u32_e64 v14, s[0:1], 0, v9, s[0:1]
	v_subb_co_u32_e32 v8, vcc, v6, v8, vcc
	v_cmp_ne_u32_e64 s[0:1], 0, v10
	v_cmp_le_u32_e32 vcc, s21, v8
	v_cndmask_b32_e64 v10, v14, v12, s[0:1]
	v_cndmask_b32_e64 v12, 0, -1, vcc
	v_cmp_le_u32_e32 vcc, s20, v7
	v_cndmask_b32_e64 v7, 0, -1, vcc
	v_cmp_eq_u32_e32 vcc, s21, v8
	v_cndmask_b32_e32 v7, v12, v7, vcc
	v_cmp_ne_u32_e32 vcc, 0, v7
	v_cndmask_b32_e64 v7, v13, v11, s[0:1]
	v_cndmask_b32_e32 v8, v9, v10, vcc
	v_cndmask_b32_e32 v7, v4, v7, vcc
.LBB0_4:                                ;   in Loop: Header=BB0_2 Depth=1
	s_andn2_saveexec_b64 s[0:1], s[22:23]
	s_cbranch_execz .LBB0_6
; %bb.5:                                ;   in Loop: Header=BB0_2 Depth=1
	v_cvt_f32_u32_e32 v4, s20
	s_sub_i32 s22, 0, s20
	v_rcp_iflag_f32_e32 v4, v4
	v_mul_f32_e32 v4, 0x4f7ffffe, v4
	v_cvt_u32_f32_e32 v4, v4
	v_mul_lo_u32 v7, s22, v4
	v_mul_hi_u32 v7, v4, v7
	v_add_u32_e32 v4, v4, v7
	v_mul_hi_u32 v4, v5, v4
	v_mul_lo_u32 v7, v4, s20
	v_add_u32_e32 v8, 1, v4
	v_sub_u32_e32 v7, v5, v7
	v_subrev_u32_e32 v9, s20, v7
	v_cmp_le_u32_e32 vcc, s20, v7
	v_cndmask_b32_e32 v7, v7, v9, vcc
	v_cndmask_b32_e32 v4, v4, v8, vcc
	v_add_u32_e32 v8, 1, v4
	v_cmp_le_u32_e32 vcc, s20, v7
	v_cndmask_b32_e32 v7, v4, v8, vcc
	v_mov_b32_e32 v8, v3
.LBB0_6:                                ;   in Loop: Header=BB0_2 Depth=1
	s_or_b64 exec, exec, s[0:1]
	v_mul_lo_u32 v4, v8, s20
	v_mul_lo_u32 v11, v7, s21
	v_mad_u64_u32 v[9:10], s[0:1], v7, s20, 0
	s_load_dwordx2 s[0:1], s[6:7], 0x0
	s_add_u32 s18, s18, 1
	v_add3_u32 v4, v10, v11, v4
	v_sub_co_u32_e32 v5, vcc, v5, v9
	v_subb_co_u32_e32 v4, vcc, v6, v4, vcc
	s_waitcnt lgkmcnt(0)
	v_mul_lo_u32 v4, s0, v4
	v_mul_lo_u32 v6, s1, v5
	v_mad_u64_u32 v[1:2], s[0:1], s0, v5, v[1:2]
	s_addc_u32 s19, s19, 0
	s_add_u32 s6, s6, 8
	v_add3_u32 v2, v6, v2, v4
	v_mov_b32_e32 v4, s10
	v_mov_b32_e32 v5, s11
	s_addc_u32 s7, s7, 0
	v_cmp_ge_u64_e32 vcc, s[18:19], v[4:5]
	s_add_u32 s16, s16, 8
	s_addc_u32 s17, s17, 0
	s_cbranch_vccnz .LBB0_9
; %bb.7:                                ;   in Loop: Header=BB0_2 Depth=1
	v_mov_b32_e32 v5, v7
	v_mov_b32_e32 v6, v8
	s_branch .LBB0_2
.LBB0_8:
	v_mov_b32_e32 v8, v6
	v_mov_b32_e32 v7, v5
.LBB0_9:
	s_lshl_b64 s[0:1], s[10:11], 3
	s_add_u32 s0, s14, s0
	s_addc_u32 s1, s15, s1
	s_load_dwordx2 s[6:7], s[0:1], 0x0
	s_load_dwordx2 s[10:11], s[4:5], 0x20
                                        ; implicit-def: $vgpr19
                                        ; implicit-def: $vgpr16
                                        ; implicit-def: $vgpr20
                                        ; implicit-def: $vgpr21
                                        ; implicit-def: $vgpr22
                                        ; implicit-def: $vgpr6
                                        ; implicit-def: $vgpr12
                                        ; implicit-def: $vgpr17
                                        ; implicit-def: $vgpr9
                                        ; implicit-def: $vgpr14
                                        ; implicit-def: $vgpr10
                                        ; implicit-def: $vgpr13
                                        ; implicit-def: $vgpr15
                                        ; implicit-def: $vgpr11
                                        ; implicit-def: $vgpr18
                                        ; implicit-def: $vgpr23
	s_waitcnt lgkmcnt(0)
	v_mad_u64_u32 v[1:2], s[0:1], s6, v7, v[1:2]
	s_mov_b32 s0, 0x10b7e6f
	v_mul_lo_u32 v3, s6, v8
	v_mul_lo_u32 v4, s7, v7
	v_mul_hi_u32 v5, v0, s0
	v_cmp_gt_u64_e32 vcc, s[10:11], v[7:8]
                                        ; implicit-def: $vgpr8
                                        ; implicit-def: $vgpr7
	v_add3_u32 v2, v4, v2, v3
	v_mul_u32_u24_e32 v3, 0xf5, v5
	v_sub_u32_e32 v3, v0, v3
	v_lshlrev_b64 v[0:1], 2, v[1:2]
	v_mov_b32_e32 v2, 0
                                        ; implicit-def: $vgpr4
                                        ; implicit-def: $vgpr5
	s_and_saveexec_b64 s[4:5], vcc
	s_cbranch_execz .LBB0_13
; %bb.10:
	v_mad_u64_u32 v[4:5], s[0:1], s2, v3, 0
	v_add_u32_e32 v9, 0x157, v3
	v_mov_b32_e32 v8, s13
	v_mov_b32_e32 v2, v5
	v_mad_u64_u32 v[5:6], s[0:1], s3, v3, v[2:3]
	v_mad_u64_u32 v[6:7], s[0:1], s2, v9, 0
	v_add_co_u32_e64 v2, s[0:1], s12, v0
	v_addc_co_u32_e64 v19, s[0:1], v8, v1, s[0:1]
	v_mad_u64_u32 v[7:8], s[0:1], s3, v9, v[7:8]
	v_add_u32_e32 v12, 0x2ae, v3
	v_mad_u64_u32 v[8:9], s[0:1], s2, v12, 0
	v_lshlrev_b64 v[4:5], 2, v[4:5]
	v_add_co_u32_e64 v10, s[0:1], v2, v4
	v_addc_co_u32_e64 v11, s[0:1], v19, v5, s[0:1]
	v_lshlrev_b64 v[4:5], 2, v[6:7]
	v_mov_b32_e32 v6, v9
	v_mad_u64_u32 v[6:7], s[0:1], s3, v12, v[6:7]
	v_add_u32_e32 v7, 0x405, v3
	v_mad_u64_u32 v[12:13], s[0:1], s2, v7, 0
	v_add_co_u32_e64 v14, s[0:1], v2, v4
	v_mov_b32_e32 v9, v6
	v_mov_b32_e32 v6, v13
	v_addc_co_u32_e64 v15, s[0:1], v19, v5, s[0:1]
	v_lshlrev_b64 v[4:5], 2, v[8:9]
	v_mad_u64_u32 v[6:7], s[0:1], s3, v7, v[6:7]
	v_add_u32_e32 v9, 0x55c, v3
	v_mad_u64_u32 v[7:8], s[0:1], s2, v9, 0
	v_add_co_u32_e64 v17, s[0:1], v2, v4
	v_mov_b32_e32 v13, v6
	v_mov_b32_e32 v6, v8
	v_addc_co_u32_e64 v18, s[0:1], v19, v5, s[0:1]
	v_mad_u64_u32 v[8:9], s[0:1], s3, v9, v[6:7]
	v_lshlrev_b64 v[4:5], 2, v[12:13]
	v_add_co_u32_e64 v12, s[0:1], v2, v4
	v_addc_co_u32_e64 v13, s[0:1], v19, v5, s[0:1]
	v_lshlrev_b64 v[4:5], 2, v[7:8]
	v_add_co_u32_e64 v8, s[0:1], v2, v4
	v_addc_co_u32_e64 v9, s[0:1], v19, v5, s[0:1]
	global_load_dword v16, v[10:11], off
	global_load_dword v4, v[14:15], off
	;; [unrolled: 1-line block ×5, first 2 shown]
	s_movk_i32 s0, 0x62
	v_cmp_gt_u32_e64 s[0:1], s0, v3
                                        ; implicit-def: $vgpr18
                                        ; implicit-def: $vgpr11
                                        ; implicit-def: $vgpr15
                                        ; implicit-def: $vgpr8
                                        ; implicit-def: $vgpr13
                                        ; implicit-def: $vgpr10
                                        ; implicit-def: $vgpr14
                                        ; implicit-def: $vgpr9
                                        ; implicit-def: $vgpr17
                                        ; implicit-def: $vgpr12
	s_and_saveexec_b64 s[6:7], s[0:1]
	s_cbranch_execz .LBB0_12
; %bb.11:
	v_add_u32_e32 v12, 0xf5, v3
	v_add_u32_e32 v14, 0x24c, v3
	v_mad_u64_u32 v[8:9], s[0:1], s2, v12, 0
	v_mad_u64_u32 v[10:11], s[0:1], s2, v14, 0
	v_add_u32_e32 v17, 0x4fa, v3
	v_mad_u64_u32 v[12:13], s[0:1], s3, v12, v[9:10]
	v_mov_b32_e32 v9, v12
	v_mad_u64_u32 v[11:12], s[0:1], s3, v14, v[11:12]
	v_add_u32_e32 v14, 0x3a3, v3
	v_mad_u64_u32 v[12:13], s[0:1], s2, v14, 0
	v_lshlrev_b64 v[8:9], 2, v[8:9]
	v_lshlrev_b64 v[10:11], 2, v[10:11]
	v_add_co_u32_e64 v8, s[0:1], v2, v8
	v_addc_co_u32_e64 v9, s[0:1], v19, v9, s[0:1]
	v_mad_u64_u32 v[13:14], s[0:1], s3, v14, v[13:14]
	v_mad_u64_u32 v[14:15], s[0:1], s2, v17, 0
	v_add_co_u32_e64 v10, s[0:1], v2, v10
	v_addc_co_u32_e64 v11, s[0:1], v19, v11, s[0:1]
	s_waitcnt vmcnt(4)
	v_mad_u64_u32 v[17:18], s[0:1], s3, v17, v[15:16]
	v_add_u32_e32 v18, 0x651, v3
	v_mad_u64_u32 v[20:21], s[0:1], s2, v18, 0
	v_lshlrev_b64 v[12:13], 2, v[12:13]
	v_mov_b32_e32 v15, v17
	v_add_co_u32_e64 v22, s[0:1], v2, v12
	v_addc_co_u32_e64 v23, s[0:1], v19, v13, s[0:1]
	v_lshlrev_b64 v[12:13], 2, v[14:15]
	v_mov_b32_e32 v14, v21
	v_mad_u64_u32 v[14:15], s[0:1], s3, v18, v[14:15]
	v_add_co_u32_e64 v24, s[0:1], v2, v12
	v_mov_b32_e32 v21, v14
	v_addc_co_u32_e64 v25, s[0:1], v19, v13, s[0:1]
	v_lshlrev_b64 v[12:13], 2, v[20:21]
	v_add_co_u32_e64 v20, s[0:1], v2, v12
	v_addc_co_u32_e64 v21, s[0:1], v19, v13, s[0:1]
	global_load_dword v18, v[8:9], off
	global_load_dword v15, v[10:11], off
	;; [unrolled: 1-line block ×5, first 2 shown]
	s_waitcnt vmcnt(4)
	v_lshrrev_b32_e32 v11, 16, v18
	s_waitcnt vmcnt(3)
	v_lshrrev_b32_e32 v8, 16, v15
	;; [unrolled: 2-line block ×5, first 2 shown]
.LBB0_12:
	s_or_b64 exec, exec, s[6:7]
	s_waitcnt vmcnt(4)
	v_lshrrev_b32_e32 v19, 16, v16
	s_waitcnt vmcnt(3)
	v_lshrrev_b32_e32 v20, 16, v4
	;; [unrolled: 2-line block ×5, first 2 shown]
	v_mov_b32_e32 v2, v3
.LBB0_13:
	s_or_b64 exec, exec, s[4:5]
	v_add_f16_e32 v25, v7, v5
	v_fma_f16 v25, v25, -0.5, v16
	v_sub_f16_e32 v26, v20, v22
	s_movk_i32 s7, 0x3b9c
	s_mov_b32 s11, 0xbb9c
	v_fma_f16 v27, v26, s7, v25
	v_sub_f16_e32 v28, v21, v23
	s_movk_i32 s6, 0x38b4
	v_sub_f16_e32 v29, v4, v5
	v_sub_f16_e32 v30, v6, v7
	v_fma_f16 v25, v26, s11, v25
	s_mov_b32 s14, 0xb8b4
	v_fma_f16 v27, v28, s6, v27
	v_add_f16_e32 v29, v29, v30
	s_movk_i32 s10, 0x34f2
	v_fma_f16 v25, v28, s14, v25
	v_fma_f16 v27, v29, s10, v27
	v_fma_f16 v29, v29, s10, v25
	v_add_f16_e32 v25, v4, v6
	v_add_f16_e32 v24, v16, v4
	v_fma_f16 v16, v25, -0.5, v16
	v_add_f16_e32 v24, v24, v5
	v_fma_f16 v25, v28, s11, v16
	v_sub_f16_e32 v30, v5, v4
	v_sub_f16_e32 v31, v7, v6
	v_fma_f16 v16, v28, s7, v16
	v_add_f16_e32 v24, v24, v7
	v_fma_f16 v25, v26, s6, v25
	v_add_f16_e32 v30, v30, v31
	v_fma_f16 v16, v26, s14, v16
	v_add_f16_e32 v24, v24, v6
	v_fma_f16 v25, v30, s10, v25
	v_fma_f16 v26, v30, s10, v16
	s_movk_i32 s0, 0x62
	v_mad_u32_u24 v16, v3, 10, 0
	v_pack_b32_f16 v25, v25, v26
	v_pack_b32_f16 v24, v24, v27
	v_cmp_gt_u32_e64 s[0:1], s0, v3
	ds_write_b64 v16, v[24:25]
	ds_write_b16 v16, v29 offset:8
	s_and_saveexec_b64 s[4:5], s[0:1]
	s_cbranch_execz .LBB0_15
; %bb.14:
	v_sub_f16_e32 v24, v13, v15
	v_sub_f16_e32 v25, v14, v17
	v_add_f16_e32 v24, v25, v24
	v_add_f16_e32 v25, v17, v15
	v_fma_f16 v25, v25, -0.5, v18
	v_sub_f16_e32 v26, v10, v9
	v_fma_f16 v27, v26, s7, v25
	v_sub_f16_e32 v28, v8, v12
	v_fma_f16 v25, v26, s11, v25
	v_fma_f16 v27, v28, s14, v27
	;; [unrolled: 1-line block ×5, first 2 shown]
	v_sub_f16_e32 v25, v15, v13
	v_sub_f16_e32 v29, v17, v14
	v_add_f16_e32 v25, v29, v25
	v_add_f16_e32 v29, v14, v13
	v_fma_f16 v29, v29, -0.5, v18
	v_add_f16_e32 v18, v15, v18
	v_fma_f16 v30, v28, s11, v29
	v_fma_f16 v28, v28, s7, v29
	v_add_f16_e32 v18, v13, v18
	v_fma_f16 v30, v26, s14, v30
	v_fma_f16 v26, v26, s6, v28
	v_add_f16_e32 v18, v14, v18
	v_fma_f16 v26, v25, s10, v26
	v_add_f16_e32 v18, v17, v18
	v_fma_f16 v30, v25, s10, v30
	v_pack_b32_f16 v25, v24, v27
	v_pack_b32_f16 v24, v18, v26
	ds_write_b64 v16, v[24:25] offset:2450
	ds_write_b16 v16, v30 offset:2458
.LBB0_15:
	s_or_b64 exec, exec, s[4:5]
	v_add_f16_e32 v18, v19, v20
	v_add_f16_e32 v18, v18, v21
	;; [unrolled: 1-line block ×5, first 2 shown]
	v_fma_f16 v18, v18, -0.5, v19
	v_sub_f16_e32 v4, v4, v6
	v_fma_f16 v6, v4, s11, v18
	v_sub_f16_e32 v5, v5, v7
	v_sub_f16_e32 v7, v20, v21
	;; [unrolled: 1-line block ×3, first 2 shown]
	v_fma_f16 v6, v5, s14, v6
	v_add_f16_e32 v7, v7, v25
	v_fma_f16 v25, v7, s10, v6
	v_fma_f16 v6, v4, s7, v18
	;; [unrolled: 1-line block ×4, first 2 shown]
	v_add_f16_e32 v6, v20, v22
	v_fma_f16 v6, v6, -0.5, v19
	v_fma_f16 v7, v5, s7, v6
	v_fma_f16 v5, v5, s11, v6
	;; [unrolled: 1-line block ×3, first 2 shown]
	v_sub_f16_e32 v18, v21, v20
	v_sub_f16_e32 v19, v23, v22
	v_fma_f16 v4, v4, s6, v5
	v_lshlrev_b32_e32 v5, 3, v3
	v_add_f16_e32 v18, v18, v19
	v_sub_u32_e32 v6, v16, v5
	v_fma_f16 v22, v18, s10, v7
	v_fma_f16 v23, v18, s10, v4
	s_waitcnt lgkmcnt(0)
	s_barrier
	v_sub_u32_e32 v4, 0, v5
	ds_read_u16 v5, v6
	ds_read_u16 v21, v6 offset:490
	ds_read_u16 v20, v6 offset:980
	;; [unrolled: 1-line block ×6, first 2 shown]
	v_pack_b32_f16 v23, v22, v23
	v_pack_b32_f16 v22, v24, v25
	s_waitcnt lgkmcnt(0)
	s_barrier
	ds_write_b64 v16, v[22:23]
	ds_write_b16 v16, v26 offset:8
	s_and_saveexec_b64 s[4:5], s[0:1]
	s_cbranch_execz .LBB0_17
; %bb.16:
	v_add_f16_e32 v23, v9, v10
	v_fma_f16 v23, v23, -0.5, v11
	v_sub_f16_e32 v15, v15, v17
	s_mov_b32 s0, 0xbb9c
	v_fma_f16 v17, v15, s0, v23
	v_sub_f16_e32 v13, v13, v14
	s_mov_b32 s1, 0xb8b4
	v_fma_f16 v14, v13, s1, v17
	v_sub_f16_e32 v17, v8, v10
	v_sub_f16_e32 v24, v12, v9
	v_fma_f16 v23, v15, s7, v23
	s_movk_i32 s10, 0x38b4
	v_add_f16_e32 v22, v8, v11
	v_add_f16_e32 v17, v24, v17
	s_movk_i32 s6, 0x34f2
	v_fma_f16 v23, v13, s10, v23
	v_add_f16_e32 v22, v10, v22
	v_fma_f16 v14, v17, s6, v14
	v_fma_f16 v17, v17, s6, v23
	v_add_f16_e32 v23, v12, v8
	v_add_f16_e32 v22, v9, v22
	v_fma_f16 v11, v23, -0.5, v11
	v_sub_f16_e32 v8, v10, v8
	v_sub_f16_e32 v9, v9, v12
	v_fma_f16 v23, v13, s7, v11
	v_add_f16_e32 v8, v9, v8
	v_fma_f16 v9, v13, s0, v11
	v_fma_f16 v23, v15, s1, v23
	;; [unrolled: 1-line block ×3, first 2 shown]
	v_add_f16_e32 v22, v12, v22
	v_mul_f16_e32 v8, 0x34f2, v8
	v_pack_b32_f16 v9, v23, v9
	v_pk_add_f16 v9, v8, v9 op_sel_hi:[0,1]
	v_pack_b32_f16 v8, v22, v14
	ds_write_b64 v16, v[8:9] offset:2450
	ds_write_b16 v16, v17 offset:2458
.LBB0_17:
	s_or_b64 exec, exec, s[4:5]
	s_movk_i32 s0, 0xcd
	v_mul_lo_u16_sdwa v8, v3, s0 dst_sel:DWORD dst_unused:UNUSED_PAD src0_sel:BYTE_0 src1_sel:DWORD
	v_lshrrev_b16_e32 v14, 10, v8
	v_mul_lo_u16_e32 v8, 5, v14
	v_sub_u16_e32 v15, v3, v8
	v_mov_b32_e32 v17, 6
	v_mul_u32_u24_sdwa v8, v15, v17 dst_sel:DWORD dst_unused:UNUSED_PAD src0_sel:BYTE_0 src1_sel:DWORD
	v_lshlrev_b32_e32 v22, 2, v8
	s_waitcnt lgkmcnt(0)
	s_barrier
	global_load_dwordx4 v[8:11], v22, s[8:9]
	global_load_dwordx2 v[12:13], v22, s[8:9] offset:16
	v_add_u32_e32 v4, v16, v4
	ds_read_u16 v16, v4
	ds_read_u16 v22, v4 offset:490
	ds_read_u16 v23, v4 offset:980
	;; [unrolled: 1-line block ×6, first 2 shown]
	s_movk_i32 s14, 0x2b26
	s_movk_i32 s0, 0x3b00
	s_mov_b32 s1, 0xbcab
	s_movk_i32 s4, 0x39e0
	s_mov_b32 s5, 0xb9e0
	s_movk_i32 s10, 0x3574
	s_mov_b32 s6, 0xb574
	s_movk_i32 s7, 0x370e
	s_movk_i32 s11, 0xeb
	s_waitcnt vmcnt(0) lgkmcnt(0)
	s_barrier
	v_mul_f16_sdwa v28, v22, v8 dst_sel:DWORD dst_unused:UNUSED_PAD src0_sel:DWORD src1_sel:WORD_1
	v_mul_f16_sdwa v29, v21, v8 dst_sel:DWORD dst_unused:UNUSED_PAD src0_sel:DWORD src1_sel:WORD_1
	;; [unrolled: 1-line block ×4, first 2 shown]
	v_fma_f16 v21, v21, v8, -v28
	v_fma_f16 v8, v22, v8, v29
	v_mul_f16_sdwa v22, v26, v12 dst_sel:DWORD dst_unused:UNUSED_PAD src0_sel:DWORD src1_sel:WORD_1
	v_fma_f16 v20, v20, v9, -v30
	v_mul_f16_sdwa v29, v7, v12 dst_sel:DWORD dst_unused:UNUSED_PAD src0_sel:DWORD src1_sel:WORD_1
	v_fma_f16 v9, v23, v9, v31
	v_mul_f16_sdwa v23, v27, v13 dst_sel:DWORD dst_unused:UNUSED_PAD src0_sel:DWORD src1_sel:WORD_1
	v_mul_f16_sdwa v30, v6, v13 dst_sel:DWORD dst_unused:UNUSED_PAD src0_sel:DWORD src1_sel:WORD_1
	;; [unrolled: 1-line block ×6, first 2 shown]
	v_fma_f16 v7, v7, v12, -v22
	v_fma_f16 v12, v26, v12, v29
	v_fma_f16 v6, v6, v13, -v23
	v_fma_f16 v13, v27, v13, v30
	;; [unrolled: 2-line block ×4, first 2 shown]
	v_add_f16_e32 v22, v21, v6
	v_add_f16_e32 v23, v8, v13
	v_sub_f16_e32 v6, v21, v6
	v_sub_f16_e32 v8, v8, v13
	v_add_f16_e32 v13, v20, v7
	v_add_f16_e32 v21, v9, v12
	v_sub_f16_e32 v7, v20, v7
	v_sub_f16_e32 v9, v9, v12
	;; [unrolled: 4-line block ×4, first 2 shown]
	v_sub_f16_e32 v22, v22, v12
	v_sub_f16_e32 v23, v23, v20
	;; [unrolled: 1-line block ×4, first 2 shown]
	v_add_f16_e32 v27, v10, v9
	v_sub_f16_e32 v29, v10, v9
	v_sub_f16_e32 v9, v9, v8
	v_add_f16_e32 v11, v12, v11
	v_add_f16_e32 v12, v20, v19
	;; [unrolled: 1-line block ×3, first 2 shown]
	v_sub_f16_e32 v28, v18, v7
	v_sub_f16_e32 v10, v8, v10
	v_add_f16_e32 v8, v27, v8
	v_mul_f16_e32 v19, 0x3a52, v22
	v_mul_f16_e32 v20, 0x3a52, v23
	;; [unrolled: 1-line block ×6, first 2 shown]
	v_add_f16_e32 v5, v5, v11
	v_add_f16_e32 v16, v16, v12
	v_sub_f16_e32 v18, v6, v18
	v_sub_f16_e32 v7, v7, v6
	v_add_f16_e32 v6, v26, v6
	v_mul_f16_e32 v26, 0xb846, v28
	v_fma_f16 v13, v13, s14, v19
	v_fma_f16 v21, v21, s14, v20
	v_fma_f16 v11, v11, s1, v5
	v_fma_f16 v12, v12, s1, v16
	v_fma_f16 v22, v24, s4, -v22
	v_fma_f16 v23, v25, s4, -v23
	;; [unrolled: 1-line block ×4, first 2 shown]
	v_fma_f16 v25, v10, s10, v27
	v_fma_f16 v9, v9, s0, -v27
	v_fma_f16 v10, v10, s6, -v29
	v_fma_f16 v24, v18, s10, v26
	v_add_f16_e32 v13, v13, v11
	v_add_f16_e32 v21, v21, v12
	;; [unrolled: 1-line block ×6, first 2 shown]
	v_fma_f16 v20, v8, s7, v25
	v_fma_f16 v9, v8, s7, v9
	v_fma_f16 v8, v8, s7, v10
	v_mul_f16_e32 v28, 0x3b00, v7
	v_fma_f16 v19, v6, s7, v24
	v_add_f16_e32 v10, v20, v13
	v_add_f16_e32 v24, v8, v11
	v_sub_f16_e32 v8, v11, v8
	v_sub_f16_e32 v11, v13, v20
	v_mul_u32_u24_e32 v13, 0x46, v14
	v_mov_b32_e32 v14, 1
	v_fma_f16 v7, v7, s0, -v26
	v_fma_f16 v18, v18, s6, -v28
	v_lshlrev_b32_sdwa v15, v14, v15 dst_sel:DWORD dst_unused:UNUSED_PAD src0_sel:DWORD src1_sel:BYTE_0
	v_fma_f16 v7, v6, s7, v7
	v_fma_f16 v6, v6, s7, v18
	v_add3_u32 v13, 0, v13, v15
	v_sub_f16_e32 v25, v12, v6
	v_sub_f16_e32 v26, v22, v9
	v_add_f16_e32 v9, v9, v22
	v_add_f16_e32 v6, v6, v12
	;; [unrolled: 1-line block ×3, first 2 shown]
	ds_write_b16 v13, v5
	ds_write_b16 v13, v10 offset:10
	ds_write_b16 v13, v24 offset:20
	;; [unrolled: 1-line block ×6, first 2 shown]
	v_mul_lo_u16_sdwa v5, v3, s11 dst_sel:DWORD dst_unused:UNUSED_PAD src0_sel:BYTE_0 src1_sel:DWORD
	v_sub_f16_e32 v18, v21, v19
	v_add_f16_e32 v27, v7, v23
	v_sub_f16_e32 v7, v23, v7
	s_waitcnt lgkmcnt(0)
	s_barrier
	ds_read_u16 v11, v4
	ds_read_u16 v15, v4 offset:490
	ds_read_u16 v19, v4 offset:980
	;; [unrolled: 1-line block ×6, first 2 shown]
	s_waitcnt lgkmcnt(0)
	s_barrier
	ds_write_b16 v13, v16
	ds_write_b16 v13, v18 offset:10
	ds_write_b16 v13, v25 offset:20
	;; [unrolled: 1-line block ×6, first 2 shown]
	v_lshrrev_b16_e32 v12, 13, v5
	v_mul_lo_u16_e32 v5, 35, v12
	v_sub_u16_e32 v13, v3, v5
	v_mul_u32_u24_sdwa v5, v13, v17 dst_sel:DWORD dst_unused:UNUSED_PAD src0_sel:BYTE_0 src1_sel:DWORD
	v_lshlrev_b32_e32 v16, 2, v5
	s_waitcnt lgkmcnt(0)
	s_barrier
	global_load_dwordx4 v[5:8], v16, s[8:9] offset:120
	global_load_dwordx2 v[9:10], v16, s[8:9] offset:136
	ds_read_u16 v16, v4
	ds_read_u16 v17, v4 offset:490
	ds_read_u16 v18, v4 offset:980
	;; [unrolled: 1-line block ×6, first 2 shown]
	s_waitcnt vmcnt(0) lgkmcnt(0)
	s_barrier
	s_movk_i32 s11, 0x3a52
	v_mul_f16_sdwa v28, v17, v5 dst_sel:DWORD dst_unused:UNUSED_PAD src0_sel:DWORD src1_sel:WORD_1
	v_fma_f16 v28, v15, v5, -v28
	v_mul_f16_sdwa v15, v15, v5 dst_sel:DWORD dst_unused:UNUSED_PAD src0_sel:DWORD src1_sel:WORD_1
	v_fma_f16 v5, v17, v5, v15
	v_mul_f16_sdwa v15, v18, v6 dst_sel:DWORD dst_unused:UNUSED_PAD src0_sel:DWORD src1_sel:WORD_1
	v_mul_f16_sdwa v17, v19, v6 dst_sel:DWORD dst_unused:UNUSED_PAD src0_sel:DWORD src1_sel:WORD_1
	v_fma_f16 v15, v19, v6, -v15
	v_fma_f16 v6, v18, v6, v17
	v_mul_f16_sdwa v17, v24, v7 dst_sel:DWORD dst_unused:UNUSED_PAD src0_sel:DWORD src1_sel:WORD_1
	v_mul_f16_sdwa v18, v20, v7 dst_sel:DWORD dst_unused:UNUSED_PAD src0_sel:DWORD src1_sel:WORD_1
	v_fma_f16 v17, v20, v7, -v17
	;; [unrolled: 4-line block ×5, first 2 shown]
	v_fma_f16 v10, v27, v10, v21
	v_add_f16_e32 v21, v28, v20
	v_add_f16_e32 v22, v5, v10
	v_sub_f16_e32 v5, v5, v10
	v_add_f16_e32 v10, v15, v19
	v_add_f16_e32 v23, v6, v9
	v_sub_f16_e32 v20, v28, v20
	v_sub_f16_e32 v15, v15, v19
	v_sub_f16_e32 v6, v6, v9
	v_add_f16_e32 v9, v17, v18
	v_add_f16_e32 v19, v7, v8
	v_sub_f16_e32 v17, v18, v17
	v_sub_f16_e32 v7, v8, v7
	v_add_f16_e32 v8, v10, v21
	v_add_f16_e32 v18, v23, v22
	v_sub_f16_e32 v24, v10, v21
	v_sub_f16_e32 v25, v23, v22
	;; [unrolled: 1-line block ×6, first 2 shown]
	v_add_f16_e32 v26, v17, v15
	v_add_f16_e32 v27, v7, v6
	v_sub_f16_e32 v28, v17, v15
	v_sub_f16_e32 v29, v7, v6
	;; [unrolled: 1-line block ×4, first 2 shown]
	v_add_f16_e32 v8, v9, v8
	v_add_f16_e32 v9, v19, v18
	v_sub_f16_e32 v17, v20, v17
	v_sub_f16_e32 v7, v5, v7
	v_add_f16_e32 v18, v26, v20
	v_add_f16_e32 v5, v27, v5
	;; [unrolled: 1-line block ×4, first 2 shown]
	v_mul_f16_e32 v19, 0x3a52, v21
	v_mul_f16_e32 v20, 0x3a52, v22
	;; [unrolled: 1-line block ×8, first 2 shown]
	v_fma_f16 v8, v8, s1, v11
	v_fma_f16 v9, v9, s1, v16
	;; [unrolled: 1-line block ×4, first 2 shown]
	v_fma_f16 v21, v24, s4, -v21
	v_fma_f16 v22, v25, s4, -v22
	;; [unrolled: 1-line block ×4, first 2 shown]
	v_fma_f16 v24, v17, s10, v26
	v_fma_f16 v25, v7, s10, v27
	v_fma_f16 v6, v6, s0, -v27
	v_fma_f16 v17, v17, s6, -v28
	;; [unrolled: 1-line block ×3, first 2 shown]
	v_add_f16_e32 v10, v10, v8
	v_add_f16_e32 v23, v23, v9
	;; [unrolled: 1-line block ×6, first 2 shown]
	v_fma_f16 v20, v5, s7, v25
	v_fma_f16 v6, v5, s7, v6
	;; [unrolled: 1-line block ×5, first 2 shown]
	v_add_f16_e32 v7, v20, v10
	v_add_f16_e32 v24, v5, v8
	v_sub_f16_e32 v25, v9, v17
	v_sub_f16_e32 v5, v8, v5
	v_add_f16_e32 v17, v17, v9
	v_sub_f16_e32 v8, v10, v20
	v_mul_u32_u24_e32 v9, 0x1ea, v12
	v_lshlrev_b32_sdwa v10, v14, v13 dst_sel:DWORD dst_unused:UNUSED_PAD src0_sel:DWORD src1_sel:BYTE_0
	v_fma_f16 v15, v15, s0, -v26
	v_sub_f16_e32 v26, v21, v6
	v_add_f16_e32 v6, v6, v21
	v_add3_u32 v12, 0, v9, v10
	ds_write_b16 v12, v11
	ds_write_b16 v12, v7 offset:70
	ds_write_b16 v12, v24 offset:140
	;; [unrolled: 1-line block ×6, first 2 shown]
	s_waitcnt lgkmcnt(0)
	s_barrier
	ds_read_u16 v5, v4
	ds_read_u16 v10, v4 offset:490
	ds_read_u16 v6, v4 offset:980
	;; [unrolled: 1-line block ×6, first 2 shown]
	v_fma_f16 v15, v18, s7, v15
	v_sub_f16_e32 v18, v23, v19
	v_add_f16_e32 v27, v15, v22
	v_sub_f16_e32 v15, v22, v15
	v_add_f16_e32 v19, v19, v23
	s_waitcnt lgkmcnt(0)
	s_barrier
	ds_write_b16 v12, v16
	ds_write_b16 v12, v18 offset:70
	ds_write_b16 v12, v25 offset:140
	;; [unrolled: 1-line block ×6, first 2 shown]
	s_waitcnt lgkmcnt(0)
	s_barrier
	s_and_saveexec_b64 s[14:15], vcc
	s_cbranch_execz .LBB0_19
; %bb.18:
	v_mul_u32_u24_e32 v3, 6, v3
	v_lshlrev_b32_e32 v3, 2, v3
	global_load_dwordx4 v[12:15], v3, s[8:9] offset:960
	global_load_dwordx2 v[16:17], v3, s[8:9] offset:976
	ds_read_u16 v3, v4 offset:490
	ds_read_u16 v18, v4 offset:2940
	ds_read_u16 v19, v4 offset:2450
	ds_read_u16 v20, v4 offset:1960
	ds_read_u16 v21, v4 offset:1470
	ds_read_u16 v22, v4 offset:980
	ds_read_u16 v4, v4
	s_waitcnt vmcnt(1) lgkmcnt(6)
	v_mul_f16_sdwa v23, v3, v12 dst_sel:DWORD dst_unused:UNUSED_PAD src0_sel:DWORD src1_sel:WORD_1
	s_waitcnt vmcnt(0) lgkmcnt(5)
	v_mul_f16_sdwa v24, v18, v17 dst_sel:DWORD dst_unused:UNUSED_PAD src0_sel:DWORD src1_sel:WORD_1
	s_waitcnt lgkmcnt(3)
	v_mul_f16_sdwa v25, v20, v15 dst_sel:DWORD dst_unused:UNUSED_PAD src0_sel:DWORD src1_sel:WORD_1
	s_waitcnt lgkmcnt(2)
	;; [unrolled: 2-line block ×3, first 2 shown]
	v_mul_f16_sdwa v27, v22, v13 dst_sel:DWORD dst_unused:UNUSED_PAD src0_sel:DWORD src1_sel:WORD_1
	v_mul_f16_sdwa v28, v19, v16 dst_sel:DWORD dst_unused:UNUSED_PAD src0_sel:DWORD src1_sel:WORD_1
	;; [unrolled: 1-line block ×5, first 2 shown]
	v_fma_f16 v10, v10, v12, -v23
	v_mul_f16_sdwa v23, v9, v15 dst_sel:DWORD dst_unused:UNUSED_PAD src0_sel:DWORD src1_sel:WORD_1
	v_fma_f16 v11, v11, v17, -v24
	v_mul_f16_sdwa v24, v8, v16 dst_sel:DWORD dst_unused:UNUSED_PAD src0_sel:DWORD src1_sel:WORD_1
	;; [unrolled: 2-line block ×3, first 2 shown]
	v_fma_f16 v7, v7, v14, -v26
	v_fma_f16 v6, v6, v13, -v27
	;; [unrolled: 1-line block ×3, first 2 shown]
	v_fma_f16 v17, v17, v18, v29
	v_fma_f16 v3, v12, v3, v30
	v_fma_f16 v12, v14, v21, v31
	v_fma_f16 v14, v15, v20, v23
	v_fma_f16 v15, v16, v19, v24
	v_fma_f16 v13, v13, v22, v25
	v_sub_f16_e32 v16, v10, v11
	v_sub_f16_e32 v18, v9, v7
	;; [unrolled: 1-line block ×3, first 2 shown]
	v_add_f16_e32 v20, v3, v17
	v_add_f16_e32 v22, v13, v15
	;; [unrolled: 1-line block ×6, first 2 shown]
	v_sub_f16_e32 v3, v3, v17
	v_sub_f16_e32 v8, v14, v12
	v_sub_f16_e32 v9, v13, v15
	v_add_f16_e32 v17, v20, v22
	v_sub_f16_e32 v23, v7, v6
	v_add_f16_e32 v24, v10, v6
	v_sub_f16_e32 v11, v16, v18
	v_sub_f16_e32 v12, v18, v19
	v_add_f16_e32 v13, v18, v19
	v_sub_f16_e32 v14, v20, v21
	v_sub_f16_e32 v15, v21, v22
	;; [unrolled: 1-line block ×5, first 2 shown]
	v_add_f16_e32 v8, v8, v9
	v_sub_f16_e32 v19, v19, v16
	v_sub_f16_e32 v20, v22, v20
	v_add_f16_e32 v17, v21, v17
	v_mul_f16_e32 v22, 0x2b26, v23
	v_add_f16_e32 v7, v7, v24
	v_mul_f16_e32 v12, 0xb846, v12
	v_mul_f16_e32 v15, 0x2b26, v15
	;; [unrolled: 1-line block ×4, first 2 shown]
	v_add_f16_e32 v8, v3, v8
	v_mul_f16_e32 v24, 0x3b00, v19
	s_waitcnt lgkmcnt(0)
	v_add_f16_e32 v27, v4, v17
	v_fma_f16 v4, v18, s11, v22
	v_add_f16_e32 v18, v5, v7
	v_sub_f16_e32 v3, v9, v3
	v_add_f16_e32 v13, v16, v13
	v_mul_f16_e32 v16, 0x3a52, v14
	v_fma_f16 v26, v11, s10, v12
	v_fma_f16 v14, v14, s11, v15
	;; [unrolled: 1-line block ×3, first 2 shown]
	v_fma_f16 v11, v11, s6, -v24
	v_fma_f16 v17, v17, s1, v27
	v_fma_f16 v7, v7, s1, v18
	v_mul_f16_e32 v9, 0x3b00, v3
	v_fma_f16 v24, v13, s7, v26
	v_fma_f16 v26, v8, s7, v5
	;; [unrolled: 1-line block ×3, first 2 shown]
	v_add_f16_e32 v11, v14, v17
	v_add_f16_e32 v14, v4, v7
	v_sub_f16_e32 v4, v6, v10
	v_fma_f16 v9, v25, s6, -v9
	v_fma_f16 v3, v3, s0, -v23
	;; [unrolled: 1-line block ×3, first 2 shown]
	v_fma_f16 v9, v8, s7, v9
	v_fma_f16 v8, v8, s7, v3
	v_fma_f16 v3, v4, s4, -v22
	v_add_f16_e32 v6, v6, v7
	v_fma_f16 v12, v19, s0, -v12
	v_add_f16_e32 v7, v3, v7
	v_mad_u64_u32 v[3:4], s[0:1], s2, v2, 0
	v_fma_f16 v16, v20, s5, -v16
	v_add_f16_e32 v16, v16, v17
	v_fma_f16 v15, v20, s4, -v15
	v_add_f16_e32 v30, v5, v16
	v_add_f16_e32 v15, v15, v17
	;; [unrolled: 1-line block ×3, first 2 shown]
	v_sub_f16_e32 v7, v7, v8
	v_sub_f16_e32 v8, v16, v5
	v_mad_u64_u32 v[4:5], s[0:1], s3, v2, v[4:5]
	v_fma_f16 v12, v13, s7, v12
	v_sub_f16_e32 v13, v15, v12
	v_add_f16_e32 v12, v12, v15
	v_mov_b32_e32 v5, s13
	v_add_co_u32_e32 v15, vcc, s12, v0
	v_addc_co_u32_e32 v16, vcc, v5, v1, vcc
	v_add_u32_e32 v5, 0xf5, v2
	v_lshlrev_b64 v[0:1], 2, v[3:4]
	v_mad_u64_u32 v[3:4], s[0:1], s2, v5, 0
	v_add_u32_e32 v19, 0x1ea, v2
	v_sub_f16_e32 v10, v6, v9
	v_mad_u64_u32 v[4:5], s[0:1], s3, v5, v[4:5]
	v_add_f16_e32 v9, v9, v6
	v_mad_u64_u32 v[5:6], s[0:1], s2, v19, 0
	v_add_co_u32_e32 v0, vcc, v15, v0
	v_addc_co_u32_e32 v1, vcc, v16, v1, vcc
	v_pack_b32_f16 v18, v18, v27
	global_store_dword v[0:1], v18, off
	v_lshlrev_b64 v[0:1], 2, v[3:4]
	v_mov_b32_e32 v3, v6
	v_mad_u64_u32 v[3:4], s[0:1], s3, v19, v[3:4]
	v_add_f16_e32 v28, v24, v11
	v_sub_f16_e32 v29, v14, v26
	v_sub_f16_e32 v11, v11, v24
	v_add_f16_e32 v14, v26, v14
	v_add_co_u32_e32 v0, vcc, v15, v0
	v_addc_co_u32_e32 v1, vcc, v16, v1, vcc
	v_pack_b32_f16 v4, v14, v11
	v_mov_b32_e32 v6, v3
	global_store_dword v[0:1], v4, off
	v_lshlrev_b64 v[0:1], 2, v[5:6]
	v_add_u32_e32 v5, 0x2df, v2
	v_mad_u64_u32 v[3:4], s[0:1], s2, v5, 0
	v_pack_b32_f16 v8, v9, v8
	v_add_u32_e32 v9, 0x3d4, v2
	v_mad_u64_u32 v[4:5], s[0:1], s3, v5, v[4:5]
	v_mad_u64_u32 v[5:6], s[0:1], s2, v9, 0
	v_add_co_u32_e32 v0, vcc, v15, v0
	v_addc_co_u32_e32 v1, vcc, v16, v1, vcc
	global_store_dword v[0:1], v8, off
	v_lshlrev_b64 v[0:1], 2, v[3:4]
	v_mov_b32_e32 v3, v6
	v_mad_u64_u32 v[3:4], s[0:1], s3, v9, v[3:4]
	v_add_co_u32_e32 v0, vcc, v15, v0
	v_addc_co_u32_e32 v1, vcc, v16, v1, vcc
	v_pack_b32_f16 v4, v7, v12
	v_mov_b32_e32 v6, v3
	global_store_dword v[0:1], v4, off
	v_lshlrev_b64 v[0:1], 2, v[5:6]
	v_add_u32_e32 v5, 0x4c9, v2
	v_mad_u64_u32 v[3:4], s[0:1], s2, v5, 0
	v_add_u32_e32 v8, 0x5be, v2
	v_add_co_u32_e32 v0, vcc, v15, v0
	v_mad_u64_u32 v[4:5], s[0:1], s3, v5, v[4:5]
	v_mad_u64_u32 v[5:6], s[0:1], s2, v8, 0
	v_addc_co_u32_e32 v1, vcc, v16, v1, vcc
	v_pack_b32_f16 v7, v17, v13
	v_mov_b32_e32 v2, v6
	global_store_dword v[0:1], v7, off
	v_lshlrev_b64 v[0:1], 2, v[3:4]
	v_mad_u64_u32 v[2:3], s[0:1], s3, v8, v[2:3]
	v_add_co_u32_e32 v0, vcc, v15, v0
	v_addc_co_u32_e32 v1, vcc, v16, v1, vcc
	v_pack_b32_f16 v3, v10, v30
	v_mov_b32_e32 v6, v2
	global_store_dword v[0:1], v3, off
	v_lshlrev_b64 v[0:1], 2, v[5:6]
	v_pack_b32_f16 v2, v29, v28
	v_add_co_u32_e32 v0, vcc, v15, v0
	v_addc_co_u32_e32 v1, vcc, v16, v1, vcc
	global_store_dword v[0:1], v2, off
.LBB0_19:
	s_endpgm
	.section	.rodata,"a",@progbits
	.p2align	6, 0x0
	.amdhsa_kernel fft_rtc_fwd_len1715_factors_5_7_7_7_wgs_245_tpt_245_halfLds_half_ip_CI_sbrr_dirReg
		.amdhsa_group_segment_fixed_size 0
		.amdhsa_private_segment_fixed_size 0
		.amdhsa_kernarg_size 88
		.amdhsa_user_sgpr_count 6
		.amdhsa_user_sgpr_private_segment_buffer 1
		.amdhsa_user_sgpr_dispatch_ptr 0
		.amdhsa_user_sgpr_queue_ptr 0
		.amdhsa_user_sgpr_kernarg_segment_ptr 1
		.amdhsa_user_sgpr_dispatch_id 0
		.amdhsa_user_sgpr_flat_scratch_init 0
		.amdhsa_user_sgpr_private_segment_size 0
		.amdhsa_uses_dynamic_stack 0
		.amdhsa_system_sgpr_private_segment_wavefront_offset 0
		.amdhsa_system_sgpr_workgroup_id_x 1
		.amdhsa_system_sgpr_workgroup_id_y 0
		.amdhsa_system_sgpr_workgroup_id_z 0
		.amdhsa_system_sgpr_workgroup_info 0
		.amdhsa_system_vgpr_workitem_id 0
		.amdhsa_next_free_vgpr 35
		.amdhsa_next_free_sgpr 24
		.amdhsa_reserve_vcc 1
		.amdhsa_reserve_flat_scratch 0
		.amdhsa_float_round_mode_32 0
		.amdhsa_float_round_mode_16_64 0
		.amdhsa_float_denorm_mode_32 3
		.amdhsa_float_denorm_mode_16_64 3
		.amdhsa_dx10_clamp 1
		.amdhsa_ieee_mode 1
		.amdhsa_fp16_overflow 0
		.amdhsa_exception_fp_ieee_invalid_op 0
		.amdhsa_exception_fp_denorm_src 0
		.amdhsa_exception_fp_ieee_div_zero 0
		.amdhsa_exception_fp_ieee_overflow 0
		.amdhsa_exception_fp_ieee_underflow 0
		.amdhsa_exception_fp_ieee_inexact 0
		.amdhsa_exception_int_div_zero 0
	.end_amdhsa_kernel
	.text
.Lfunc_end0:
	.size	fft_rtc_fwd_len1715_factors_5_7_7_7_wgs_245_tpt_245_halfLds_half_ip_CI_sbrr_dirReg, .Lfunc_end0-fft_rtc_fwd_len1715_factors_5_7_7_7_wgs_245_tpt_245_halfLds_half_ip_CI_sbrr_dirReg
                                        ; -- End function
	.section	.AMDGPU.csdata,"",@progbits
; Kernel info:
; codeLenInByte = 5984
; NumSgprs: 28
; NumVgprs: 35
; ScratchSize: 0
; MemoryBound: 0
; FloatMode: 240
; IeeeMode: 1
; LDSByteSize: 0 bytes/workgroup (compile time only)
; SGPRBlocks: 3
; VGPRBlocks: 8
; NumSGPRsForWavesPerEU: 28
; NumVGPRsForWavesPerEU: 35
; Occupancy: 7
; WaveLimiterHint : 1
; COMPUTE_PGM_RSRC2:SCRATCH_EN: 0
; COMPUTE_PGM_RSRC2:USER_SGPR: 6
; COMPUTE_PGM_RSRC2:TRAP_HANDLER: 0
; COMPUTE_PGM_RSRC2:TGID_X_EN: 1
; COMPUTE_PGM_RSRC2:TGID_Y_EN: 0
; COMPUTE_PGM_RSRC2:TGID_Z_EN: 0
; COMPUTE_PGM_RSRC2:TIDIG_COMP_CNT: 0
	.type	__hip_cuid_b2b75601705316c8,@object ; @__hip_cuid_b2b75601705316c8
	.section	.bss,"aw",@nobits
	.globl	__hip_cuid_b2b75601705316c8
__hip_cuid_b2b75601705316c8:
	.byte	0                               ; 0x0
	.size	__hip_cuid_b2b75601705316c8, 1

	.ident	"AMD clang version 19.0.0git (https://github.com/RadeonOpenCompute/llvm-project roc-6.4.0 25133 c7fe45cf4b819c5991fe208aaa96edf142730f1d)"
	.section	".note.GNU-stack","",@progbits
	.addrsig
	.addrsig_sym __hip_cuid_b2b75601705316c8
	.amdgpu_metadata
---
amdhsa.kernels:
  - .args:
      - .actual_access:  read_only
        .address_space:  global
        .offset:         0
        .size:           8
        .value_kind:     global_buffer
      - .offset:         8
        .size:           8
        .value_kind:     by_value
      - .actual_access:  read_only
        .address_space:  global
        .offset:         16
        .size:           8
        .value_kind:     global_buffer
      - .actual_access:  read_only
        .address_space:  global
        .offset:         24
        .size:           8
        .value_kind:     global_buffer
      - .offset:         32
        .size:           8
        .value_kind:     by_value
      - .actual_access:  read_only
        .address_space:  global
        .offset:         40
        .size:           8
        .value_kind:     global_buffer
      - .actual_access:  read_only
        .address_space:  global
        .offset:         48
        .size:           8
        .value_kind:     global_buffer
      - .offset:         56
        .size:           4
        .value_kind:     by_value
      - .actual_access:  read_only
        .address_space:  global
        .offset:         64
        .size:           8
        .value_kind:     global_buffer
      - .actual_access:  read_only
        .address_space:  global
        .offset:         72
        .size:           8
        .value_kind:     global_buffer
      - .address_space:  global
        .offset:         80
        .size:           8
        .value_kind:     global_buffer
    .group_segment_fixed_size: 0
    .kernarg_segment_align: 8
    .kernarg_segment_size: 88
    .language:       OpenCL C
    .language_version:
      - 2
      - 0
    .max_flat_workgroup_size: 245
    .name:           fft_rtc_fwd_len1715_factors_5_7_7_7_wgs_245_tpt_245_halfLds_half_ip_CI_sbrr_dirReg
    .private_segment_fixed_size: 0
    .sgpr_count:     28
    .sgpr_spill_count: 0
    .symbol:         fft_rtc_fwd_len1715_factors_5_7_7_7_wgs_245_tpt_245_halfLds_half_ip_CI_sbrr_dirReg.kd
    .uniform_work_group_size: 1
    .uses_dynamic_stack: false
    .vgpr_count:     35
    .vgpr_spill_count: 0
    .wavefront_size: 64
amdhsa.target:   amdgcn-amd-amdhsa--gfx906
amdhsa.version:
  - 1
  - 2
...

	.end_amdgpu_metadata
